;; amdgpu-corpus repo=ROCm/rocFFT kind=compiled arch=gfx1030 opt=O3
	.text
	.amdgcn_target "amdgcn-amd-amdhsa--gfx1030"
	.amdhsa_code_object_version 6
	.protected	fft_rtc_back_len720_factors_10_3_8_3_wgs_240_tpt_120_halfLds_dp_ip_CI_unitstride_sbrr_dirReg ; -- Begin function fft_rtc_back_len720_factors_10_3_8_3_wgs_240_tpt_120_halfLds_dp_ip_CI_unitstride_sbrr_dirReg
	.globl	fft_rtc_back_len720_factors_10_3_8_3_wgs_240_tpt_120_halfLds_dp_ip_CI_unitstride_sbrr_dirReg
	.p2align	8
	.type	fft_rtc_back_len720_factors_10_3_8_3_wgs_240_tpt_120_halfLds_dp_ip_CI_unitstride_sbrr_dirReg,@function
fft_rtc_back_len720_factors_10_3_8_3_wgs_240_tpt_120_halfLds_dp_ip_CI_unitstride_sbrr_dirReg: ; @fft_rtc_back_len720_factors_10_3_8_3_wgs_240_tpt_120_halfLds_dp_ip_CI_unitstride_sbrr_dirReg
; %bb.0:
	s_clause 0x2
	s_load_dwordx4 s[8:11], s[4:5], 0x0
	s_load_dwordx2 s[2:3], s[4:5], 0x50
	s_load_dwordx2 s[12:13], s[4:5], 0x18
	v_mul_u32_u24_e32 v1, 0x223, v0
	v_mov_b32_e32 v3, 0
	v_lshrrev_b32_e32 v84, 16, v1
	v_mov_b32_e32 v1, 0
	v_mov_b32_e32 v6, v3
	v_mov_b32_e32 v2, 0
	v_lshl_add_u32 v5, s6, 1, v84
	s_waitcnt lgkmcnt(0)
	v_cmp_lt_u64_e64 s0, s[10:11], 2
	s_and_b32 vcc_lo, exec_lo, s0
	s_cbranch_vccnz .LBB0_8
; %bb.1:
	s_load_dwordx2 s[0:1], s[4:5], 0x10
	v_mov_b32_e32 v1, 0
	s_add_u32 s6, s12, 8
	v_mov_b32_e32 v2, 0
	s_addc_u32 s7, s13, 0
	s_mov_b64 s[16:17], 1
	s_waitcnt lgkmcnt(0)
	s_add_u32 s14, s0, 8
	s_addc_u32 s15, s1, 0
.LBB0_2:                                ; =>This Inner Loop Header: Depth=1
	s_load_dwordx2 s[18:19], s[14:15], 0x0
                                        ; implicit-def: $vgpr7_vgpr8
	s_mov_b32 s0, exec_lo
	s_waitcnt lgkmcnt(0)
	v_or_b32_e32 v4, s19, v6
	v_cmpx_ne_u64_e32 0, v[3:4]
	s_xor_b32 s1, exec_lo, s0
	s_cbranch_execz .LBB0_4
; %bb.3:                                ;   in Loop: Header=BB0_2 Depth=1
	v_cvt_f32_u32_e32 v4, s18
	v_cvt_f32_u32_e32 v7, s19
	s_sub_u32 s0, 0, s18
	s_subb_u32 s20, 0, s19
	v_fmac_f32_e32 v4, 0x4f800000, v7
	v_rcp_f32_e32 v4, v4
	v_mul_f32_e32 v4, 0x5f7ffffc, v4
	v_mul_f32_e32 v7, 0x2f800000, v4
	v_trunc_f32_e32 v7, v7
	v_fmac_f32_e32 v4, 0xcf800000, v7
	v_cvt_u32_f32_e32 v7, v7
	v_cvt_u32_f32_e32 v4, v4
	v_mul_lo_u32 v8, s0, v7
	v_mul_hi_u32 v9, s0, v4
	v_mul_lo_u32 v10, s20, v4
	v_add_nc_u32_e32 v8, v9, v8
	v_mul_lo_u32 v9, s0, v4
	v_add_nc_u32_e32 v8, v8, v10
	v_mul_hi_u32 v10, v4, v9
	v_mul_lo_u32 v11, v4, v8
	v_mul_hi_u32 v12, v4, v8
	v_mul_hi_u32 v13, v7, v9
	v_mul_lo_u32 v9, v7, v9
	v_mul_hi_u32 v14, v7, v8
	v_mul_lo_u32 v8, v7, v8
	v_add_co_u32 v10, vcc_lo, v10, v11
	v_add_co_ci_u32_e32 v11, vcc_lo, 0, v12, vcc_lo
	v_add_co_u32 v9, vcc_lo, v10, v9
	v_add_co_ci_u32_e32 v9, vcc_lo, v11, v13, vcc_lo
	v_add_co_ci_u32_e32 v10, vcc_lo, 0, v14, vcc_lo
	v_add_co_u32 v8, vcc_lo, v9, v8
	v_add_co_ci_u32_e32 v9, vcc_lo, 0, v10, vcc_lo
	v_add_co_u32 v4, vcc_lo, v4, v8
	v_add_co_ci_u32_e32 v7, vcc_lo, v7, v9, vcc_lo
	v_mul_hi_u32 v8, s0, v4
	v_mul_lo_u32 v10, s20, v4
	v_mul_lo_u32 v9, s0, v7
	v_add_nc_u32_e32 v8, v8, v9
	v_mul_lo_u32 v9, s0, v4
	v_add_nc_u32_e32 v8, v8, v10
	v_mul_hi_u32 v10, v4, v9
	v_mul_lo_u32 v11, v4, v8
	v_mul_hi_u32 v12, v4, v8
	v_mul_hi_u32 v13, v7, v9
	v_mul_lo_u32 v9, v7, v9
	v_mul_hi_u32 v14, v7, v8
	v_mul_lo_u32 v8, v7, v8
	v_add_co_u32 v10, vcc_lo, v10, v11
	v_add_co_ci_u32_e32 v11, vcc_lo, 0, v12, vcc_lo
	v_add_co_u32 v9, vcc_lo, v10, v9
	v_add_co_ci_u32_e32 v9, vcc_lo, v11, v13, vcc_lo
	v_add_co_ci_u32_e32 v10, vcc_lo, 0, v14, vcc_lo
	v_add_co_u32 v8, vcc_lo, v9, v8
	v_add_co_ci_u32_e32 v9, vcc_lo, 0, v10, vcc_lo
	v_add_co_u32 v4, vcc_lo, v4, v8
	v_add_co_ci_u32_e32 v11, vcc_lo, v7, v9, vcc_lo
	v_mul_hi_u32 v13, v5, v4
	v_mad_u64_u32 v[9:10], null, v6, v4, 0
	v_mad_u64_u32 v[7:8], null, v5, v11, 0
	;; [unrolled: 1-line block ×3, first 2 shown]
	v_add_co_u32 v4, vcc_lo, v13, v7
	v_add_co_ci_u32_e32 v7, vcc_lo, 0, v8, vcc_lo
	v_add_co_u32 v4, vcc_lo, v4, v9
	v_add_co_ci_u32_e32 v4, vcc_lo, v7, v10, vcc_lo
	v_add_co_ci_u32_e32 v7, vcc_lo, 0, v12, vcc_lo
	v_add_co_u32 v4, vcc_lo, v4, v11
	v_add_co_ci_u32_e32 v9, vcc_lo, 0, v7, vcc_lo
	v_mul_lo_u32 v10, s19, v4
	v_mad_u64_u32 v[7:8], null, s18, v4, 0
	v_mul_lo_u32 v11, s18, v9
	v_sub_co_u32 v7, vcc_lo, v5, v7
	v_add3_u32 v8, v8, v11, v10
	v_sub_nc_u32_e32 v10, v6, v8
	v_subrev_co_ci_u32_e64 v10, s0, s19, v10, vcc_lo
	v_add_co_u32 v11, s0, v4, 2
	v_add_co_ci_u32_e64 v12, s0, 0, v9, s0
	v_sub_co_u32 v13, s0, v7, s18
	v_sub_co_ci_u32_e32 v8, vcc_lo, v6, v8, vcc_lo
	v_subrev_co_ci_u32_e64 v10, s0, 0, v10, s0
	v_cmp_le_u32_e32 vcc_lo, s18, v13
	v_cmp_eq_u32_e64 s0, s19, v8
	v_cndmask_b32_e64 v13, 0, -1, vcc_lo
	v_cmp_le_u32_e32 vcc_lo, s19, v10
	v_cndmask_b32_e64 v14, 0, -1, vcc_lo
	v_cmp_le_u32_e32 vcc_lo, s18, v7
	;; [unrolled: 2-line block ×3, first 2 shown]
	v_cndmask_b32_e64 v15, 0, -1, vcc_lo
	v_cmp_eq_u32_e32 vcc_lo, s19, v10
	v_cndmask_b32_e64 v7, v15, v7, s0
	v_cndmask_b32_e32 v10, v14, v13, vcc_lo
	v_add_co_u32 v13, vcc_lo, v4, 1
	v_add_co_ci_u32_e32 v14, vcc_lo, 0, v9, vcc_lo
	v_cmp_ne_u32_e32 vcc_lo, 0, v10
	v_cndmask_b32_e32 v8, v14, v12, vcc_lo
	v_cndmask_b32_e32 v10, v13, v11, vcc_lo
	v_cmp_ne_u32_e32 vcc_lo, 0, v7
	v_cndmask_b32_e32 v8, v9, v8, vcc_lo
	v_cndmask_b32_e32 v7, v4, v10, vcc_lo
.LBB0_4:                                ;   in Loop: Header=BB0_2 Depth=1
	s_andn2_saveexec_b32 s0, s1
	s_cbranch_execz .LBB0_6
; %bb.5:                                ;   in Loop: Header=BB0_2 Depth=1
	v_cvt_f32_u32_e32 v4, s18
	s_sub_i32 s1, 0, s18
	v_rcp_iflag_f32_e32 v4, v4
	v_mul_f32_e32 v4, 0x4f7ffffe, v4
	v_cvt_u32_f32_e32 v4, v4
	v_mul_lo_u32 v7, s1, v4
	v_mul_hi_u32 v7, v4, v7
	v_add_nc_u32_e32 v4, v4, v7
	v_mul_hi_u32 v4, v5, v4
	v_mul_lo_u32 v7, v4, s18
	v_add_nc_u32_e32 v8, 1, v4
	v_sub_nc_u32_e32 v7, v5, v7
	v_subrev_nc_u32_e32 v9, s18, v7
	v_cmp_le_u32_e32 vcc_lo, s18, v7
	v_cndmask_b32_e32 v7, v7, v9, vcc_lo
	v_cndmask_b32_e32 v4, v4, v8, vcc_lo
	v_cmp_le_u32_e32 vcc_lo, s18, v7
	v_add_nc_u32_e32 v8, 1, v4
	v_cndmask_b32_e32 v7, v4, v8, vcc_lo
	v_mov_b32_e32 v8, v3
.LBB0_6:                                ;   in Loop: Header=BB0_2 Depth=1
	s_or_b32 exec_lo, exec_lo, s0
	s_load_dwordx2 s[0:1], s[6:7], 0x0
	v_mul_lo_u32 v4, v8, s18
	v_mul_lo_u32 v11, v7, s19
	v_mad_u64_u32 v[9:10], null, v7, s18, 0
	s_add_u32 s16, s16, 1
	s_addc_u32 s17, s17, 0
	s_add_u32 s6, s6, 8
	s_addc_u32 s7, s7, 0
	;; [unrolled: 2-line block ×3, first 2 shown]
	v_add3_u32 v4, v10, v11, v4
	v_sub_co_u32 v5, vcc_lo, v5, v9
	v_sub_co_ci_u32_e32 v4, vcc_lo, v6, v4, vcc_lo
	s_waitcnt lgkmcnt(0)
	v_mul_lo_u32 v6, s1, v5
	v_mul_lo_u32 v4, s0, v4
	v_mad_u64_u32 v[1:2], null, s0, v5, v[1:2]
	v_cmp_ge_u64_e64 s0, s[16:17], s[10:11]
	s_and_b32 vcc_lo, exec_lo, s0
	v_add3_u32 v2, v6, v2, v4
	s_cbranch_vccnz .LBB0_9
; %bb.7:                                ;   in Loop: Header=BB0_2 Depth=1
	v_mov_b32_e32 v5, v7
	v_mov_b32_e32 v6, v8
	s_branch .LBB0_2
.LBB0_8:
	v_mov_b32_e32 v8, v6
	v_mov_b32_e32 v7, v5
.LBB0_9:
	s_lshl_b64 s[0:1], s[10:11], 3
	v_mul_hi_u32 v3, 0x2222223, v0
	s_add_u32 s0, s12, s0
	s_addc_u32 s1, s13, s1
                                        ; implicit-def: $vgpr14_vgpr15
                                        ; implicit-def: $vgpr38_vgpr39
                                        ; implicit-def: $vgpr30_vgpr31
                                        ; implicit-def: $vgpr26_vgpr27
                                        ; implicit-def: $vgpr22_vgpr23
                                        ; implicit-def: $vgpr34_vgpr35
                                        ; implicit-def: $vgpr42_vgpr43
                                        ; implicit-def: $vgpr18_vgpr19
                                        ; implicit-def: $vgpr10_vgpr11
	s_load_dwordx2 s[0:1], s[0:1], 0x0
	s_load_dwordx2 s[4:5], s[4:5], 0x20
	v_mul_u32_u24_e32 v3, 0x78, v3
	v_sub_nc_u32_e32 v56, v0, v3
	s_waitcnt lgkmcnt(0)
	v_mul_lo_u32 v4, s0, v8
	v_mul_lo_u32 v5, s1, v7
	v_mad_u64_u32 v[1:2], null, s0, v7, v[1:2]
	v_cmp_gt_u64_e32 vcc_lo, s[4:5], v[7:8]
	v_cmp_gt_u32_e64 s0, 0x48, v56
                                        ; implicit-def: $vgpr6_vgpr7
	s_and_b32 s1, vcc_lo, s0
	v_add3_u32 v2, v5, v2, v4
	v_lshlrev_b64 v[58:59], 4, v[1:2]
	s_and_saveexec_b32 s4, s1
	s_cbranch_execz .LBB0_11
; %bb.10:
	v_mov_b32_e32 v57, 0
	v_add_co_u32 v2, s1, s2, v58
	v_add_co_ci_u32_e64 v3, s1, s3, v59, s1
	v_lshlrev_b64 v[0:1], 4, v[56:57]
	v_add_co_u32 v0, s1, v2, v0
	v_add_co_ci_u32_e64 v1, s1, v3, v1, s1
	s_clause 0x1
	global_load_dwordx4 v[8:11], v[0:1], off
	global_load_dwordx4 v[4:7], v[0:1], off offset:1152
	v_add_co_u32 v2, s1, 0x800, v0
	v_add_co_ci_u32_e64 v3, s1, 0, v1, s1
	v_add_co_u32 v20, s1, 0x1000, v0
	v_add_co_ci_u32_e64 v21, s1, 0, v1, s1
	s_clause 0x1
	global_load_dwordx4 v[16:19], v[2:3], off offset:256
	global_load_dwordx4 v[12:15], v[2:3], off offset:1408
	v_add_co_u32 v2, s1, 0x1800, v0
	v_add_co_ci_u32_e64 v3, s1, 0, v1, s1
	v_add_co_u32 v22, s1, 0x2000, v0
	v_add_co_ci_u32_e64 v23, s1, 0, v1, s1
	;; [unrolled: 2-line block ×3, first 2 shown]
	s_clause 0x5
	global_load_dwordx4 v[36:39], v[20:21], off offset:512
	global_load_dwordx4 v[40:43], v[20:21], off offset:1664
	;; [unrolled: 1-line block ×6, first 2 shown]
.LBB0_11:
	s_or_b32 exec_lo, exec_lo, s4
	s_waitcnt vmcnt(2)
	v_add_f64 v[0:1], v[34:35], v[42:43]
	s_waitcnt vmcnt(0)
	v_add_f64 v[2:3], v[14:15], v[26:27]
	v_add_f64 v[44:45], v[32:33], v[40:41]
	;; [unrolled: 1-line block ×3, first 2 shown]
	v_add_f64 v[60:61], v[12:13], -v[24:25]
	v_add_f64 v[62:63], v[40:41], -v[32:33]
	s_mov_b32 s4, 0x134454ff
	s_mov_b32 s5, 0x3fee6f0e
	;; [unrolled: 1-line block ×4, first 2 shown]
	v_add_f64 v[64:65], v[14:15], -v[26:27]
	v_add_f64 v[48:49], v[14:15], -v[42:43]
	;; [unrolled: 1-line block ×6, first 2 shown]
	v_add_f64 v[70:71], v[36:37], v[28:29]
	v_add_f64 v[72:73], v[20:21], v[16:17]
	s_mov_b32 s6, 0x4755a5e
	s_mov_b32 s7, 0x3fe2cf23
	v_add_f64 v[80:81], v[16:17], -v[36:37]
	v_add_f64 v[82:83], v[20:21], -v[28:29]
	v_fma_f64 v[0:1], v[0:1], -0.5, v[6:7]
	v_fma_f64 v[2:3], v[2:3], -0.5, v[6:7]
	;; [unrolled: 1-line block ×4, first 2 shown]
	v_add_f64 v[85:86], v[12:13], -v[40:41]
	v_add_f64 v[87:88], v[24:25], -v[32:33]
	;; [unrolled: 1-line block ×6, first 2 shown]
	s_mov_b32 s10, 0x372fe950
	s_mov_b32 s17, 0xbfe2cf23
	v_add_f64 v[93:94], v[50:51], v[48:49]
	s_mov_b32 s11, 0x3fd3c6ef
	v_add_f64 v[66:67], v[66:67], v[54:55]
	s_mov_b32 s16, s6
	v_fma_f64 v[70:71], v[70:71], -0.5, v[8:9]
	v_fma_f64 v[54:55], v[72:73], -0.5, v[8:9]
	v_add_f64 v[95:96], v[36:37], -v[16:17]
	s_mov_b32 s14, 0x9b97f4a8
	s_mov_b32 s15, 0x3fe9e377
	v_add_f64 v[72:73], v[82:83], v[80:81]
	v_fma_f64 v[46:47], v[60:61], s[4:5], v[0:1]
	v_fma_f64 v[78:79], v[62:63], s[12:13], v[2:3]
	;; [unrolled: 1-line block ×4, first 2 shown]
	v_add_f64 v[80:81], v[28:29], -v[20:21]
	v_add_f64 v[85:86], v[87:88], v[85:86]
	v_fma_f64 v[82:83], v[64:65], s[4:5], v[44:45]
	v_add_f64 v[87:88], v[91:92], v[89:90]
	v_fma_f64 v[76:77], v[74:75], s[12:13], v[76:77]
	v_fma_f64 v[0:1], v[60:61], s[12:13], v[0:1]
	;; [unrolled: 1-line block ×3, first 2 shown]
	v_and_b32_e32 v57, 1, v84
	v_fma_f64 v[89:90], v[52:53], s[12:13], v[70:71]
	v_fma_f64 v[91:92], v[68:69], s[4:5], v[54:55]
	v_cmp_eq_u32_e64 s1, 1, v57
	v_fma_f64 v[46:47], v[62:63], s[6:7], v[46:47]
	v_fma_f64 v[78:79], v[60:61], s[6:7], v[78:79]
	;; [unrolled: 1-line block ×4, first 2 shown]
	v_add_f64 v[80:81], v[80:81], v[95:96]
	v_cndmask_b32_e64 v57, 0, 0x2d0, s1
	v_fma_f64 v[95:96], v[74:75], s[6:7], v[82:83]
	v_fma_f64 v[64:65], v[64:65], s[6:7], v[76:77]
	;; [unrolled: 1-line block ×4, first 2 shown]
	v_lshlrev_b32_e32 v57, 3, v57
	v_fma_f64 v[74:75], v[68:69], s[16:17], v[89:90]
	v_fma_f64 v[44:45], v[93:94], s[10:11], v[46:47]
	;; [unrolled: 1-line block ×11, first 2 shown]
	v_mul_f64 v[82:83], v[44:45], s[16:17]
	v_mul_f64 v[89:90], v[46:47], s[12:13]
	v_fma_f64 v[78:79], v[80:81], s[10:11], v[78:79]
	v_fma_f64 v[76:77], v[50:51], s[14:15], v[82:83]
	;; [unrolled: 1-line block ×3, first 2 shown]
	v_add_f64 v[0:1], v[74:75], -v[76:77]
	v_add_f64 v[2:3], v[78:79], -v[82:83]
	s_and_saveexec_b32 s1, s0
	s_cbranch_execz .LBB0_13
; %bb.12:
	v_add_f64 v[8:9], v[16:17], v[8:9]
	v_add_f64 v[4:5], v[4:5], v[12:13]
	v_mul_f64 v[12:13], v[68:69], s[4:5]
	v_mul_f64 v[84:85], v[52:53], s[4:5]
	;; [unrolled: 1-line block ×3, first 2 shown]
	s_mov_b32 s19, 0xbfd3c6ef
	s_mov_b32 s18, s10
	v_add_f64 v[8:9], v[36:37], v[8:9]
	v_add_f64 v[4:5], v[4:5], v[40:41]
	v_mul_f64 v[40:41], v[52:53], s[6:7]
	v_add_f64 v[12:13], v[54:55], -v[12:13]
	v_add_f64 v[70:71], v[84:85], v[70:71]
	v_mul_f64 v[54:55], v[80:81], s[10:11]
	v_mul_f64 v[52:53], v[72:73], s[10:11]
	v_mul_f64 v[72:73], v[64:65], s[16:17]
	s_mov_b32 s17, 0xbfe9e377
	s_mov_b32 s16, s14
	v_add_f64 v[8:9], v[28:29], v[8:9]
	v_add_f64 v[4:5], v[32:33], v[4:5]
	v_mul_f64 v[32:33], v[66:67], s[12:13]
	v_add_f64 v[12:13], v[40:41], v[12:13]
	v_add_f64 v[68:69], v[68:69], v[70:71]
	;; [unrolled: 1-line block ×3, first 2 shown]
	v_fma_f64 v[40:41], v[60:61], s[16:17], v[72:73]
	v_add_f64 v[8:9], v[20:21], v[8:9]
	v_add_f64 v[4:5], v[24:25], v[4:5]
	v_fma_f64 v[24:25], v[62:63], s[18:19], v[32:33]
	v_add_f64 v[12:13], v[54:55], v[12:13]
	v_add_f64 v[72:73], v[52:53], v[68:69]
	;; [unrolled: 1-line block ×4, first 2 shown]
	v_add_f64 v[78:79], v[8:9], -v[4:5]
	v_add_f64 v[54:55], v[24:25], v[12:13]
	v_add_f64 v[76:77], v[72:73], v[40:41]
	v_add_f64 v[74:75], v[72:73], -v[40:41]
	v_add_f64 v[72:73], v[12:13], -v[24:25]
	v_mul_u32_u24_e32 v4, 10, v56
	v_lshlrev_b32_e32 v4, 3, v4
	v_add3_u32 v4, 0, v4, v57
	ds_write_b128 v4, v[0:3] offset:48
	ds_write_b128 v4, v[68:71]
	ds_write_b128 v4, v[52:55] offset:16
	ds_write_b128 v4, v[76:79] offset:32
	;; [unrolled: 1-line block ×3, first 2 shown]
.LBB0_13:
	s_or_b32 exec_lo, exec_lo, s1
	v_add_f64 v[4:5], v[38:39], v[30:31]
	v_add_f64 v[8:9], v[22:23], v[18:19]
	v_add_f64 v[40:41], v[16:17], -v[20:21]
	v_add_f64 v[36:37], v[36:37], -v[28:29]
	v_add_f64 v[12:13], v[38:39], -v[18:19]
	v_add_f64 v[16:17], v[30:31], -v[22:23]
	v_mul_f64 v[50:51], v[50:51], s[6:7]
	v_mul_f64 v[46:47], v[46:47], s[10:11]
	s_waitcnt lgkmcnt(0)
	s_barrier
	buffer_gl0_inv
	v_fma_f64 v[28:29], v[4:5], -0.5, v[10:11]
	v_fma_f64 v[32:33], v[8:9], -0.5, v[10:11]
	v_add_f64 v[4:5], v[18:19], -v[38:39]
	v_add_f64 v[8:9], v[22:23], -v[30:31]
	v_add_f64 v[70:71], v[16:17], v[12:13]
	v_fma_f64 v[12:13], v[44:45], s[14:15], v[50:51]
	v_fma_f64 v[16:17], v[48:49], s[4:5], v[46:47]
	;; [unrolled: 1-line block ×4, first 2 shown]
	v_add_f64 v[68:69], v[8:9], v[4:5]
	v_fma_f64 v[4:5], v[36:37], s[6:7], v[20:21]
	v_fma_f64 v[8:9], v[40:41], s[6:7], v[24:25]
	;; [unrolled: 1-line block ×4, first 2 shown]
	v_lshlrev_b32_e32 v4, 3, v56
	v_add_nc_u32_e32 v75, 0, v4
	v_add3_u32 v72, 0, v57, v4
	v_add_nc_u32_e32 v73, v75, v57
	v_add_nc_u32_e32 v74, 0x800, v73
	ds_read2_b64 v[48:51], v73 offset0:120 offset1:240
	ds_read2_b64 v[52:55], v74 offset0:104 offset1:224
	ds_read_b64 v[4:5], v72
	ds_read_b64 v[8:9], v73 offset:4800
	v_add_f64 v[44:45], v[20:21], -v[12:13]
	v_add_f64 v[46:47], v[24:25], -v[16:17]
	s_waitcnt lgkmcnt(0)
	s_barrier
	buffer_gl0_inv
	s_and_saveexec_b32 s1, s0
	s_cbranch_execz .LBB0_15
; %bb.14:
	v_add_f64 v[10:11], v[18:19], v[10:11]
	v_add_f64 v[6:7], v[6:7], v[14:15]
	v_mul_f64 v[14:15], v[36:37], s[4:5]
	v_mul_f64 v[18:19], v[40:41], s[4:5]
	;; [unrolled: 1-line block ×4, first 2 shown]
	s_mov_b32 s4, 0x372fe950
	s_mov_b32 s5, 0xbfd3c6ef
	;; [unrolled: 1-line block ×4, first 2 shown]
	v_add_f64 v[12:13], v[20:21], v[12:13]
	v_add_f64 v[10:11], v[38:39], v[10:11]
	;; [unrolled: 1-line block ×4, first 2 shown]
	v_add_f64 v[18:19], v[28:29], -v[18:19]
	v_mul_f64 v[32:33], v[70:71], s[10:11]
	v_mul_f64 v[38:39], v[66:67], s[4:5]
	;; [unrolled: 1-line block ×4, first 2 shown]
	s_mov_b32 s4, 0x134454ff
	s_mov_b32 s5, 0x3fee6f0e
	;; [unrolled: 1-line block ×4, first 2 shown]
	v_add_f64 v[10:11], v[30:31], v[10:11]
	v_add_f64 v[6:7], v[34:35], v[6:7]
	v_add_f64 v[14:15], v[14:15], -v[40:41]
	v_add_f64 v[18:19], v[18:19], -v[36:37]
	v_fma_f64 v[30:31], v[62:63], s[4:5], v[38:39]
	v_fma_f64 v[34:35], v[60:61], s[6:7], v[42:43]
	v_add_f64 v[22:23], v[22:23], v[10:11]
	v_add_f64 v[6:7], v[26:27], v[6:7]
	;; [unrolled: 1-line block ×8, first 2 shown]
	v_add_f64 v[20:21], v[22:23], -v[6:7]
	v_add_f64 v[22:23], v[26:27], -v[30:31]
	;; [unrolled: 1-line block ×3, first 2 shown]
	v_mul_u32_u24_e32 v6, 0x48, v56
	v_add3_u32 v6, v75, v6, v57
	ds_write_b128 v6, v[44:47] offset:48
	ds_write_b128 v6, v[10:13]
	ds_write_b128 v6, v[14:17] offset:16
	ds_write_b128 v6, v[18:21] offset:32
	;; [unrolled: 1-line block ×3, first 2 shown]
.LBB0_15:
	s_or_b32 exec_lo, exec_lo, s1
	v_add_nc_u32_e32 v60, 0x78, v56
	v_and_b32_e32 v38, 0xff, v56
	v_mov_b32_e32 v10, 5
	s_waitcnt lgkmcnt(0)
	s_barrier
	v_and_b32_e32 v6, 0xff, v60
	v_mul_lo_u16 v7, 0xcd, v38
	buffer_gl0_inv
	s_mov_b32 s4, 0xe8584caa
	s_mov_b32 s5, 0xbfebb67a
	v_mul_lo_u16 v6, 0xcd, v6
	v_lshrrev_b16 v43, 11, v7
	s_mov_b32 s7, 0x3febb67a
	s_mov_b32 s6, s4
	v_cmp_gt_u32_e64 s0, 0x5a, v56
	v_lshrrev_b16 v65, 11, v6
	v_mul_lo_u16 v6, v43, 10
	v_mul_lo_u16 v7, v65, 10
	v_sub_nc_u16 v66, v56, v6
	v_sub_nc_u16 v67, v60, v7
	v_lshlrev_b32_sdwa v6, v10, v66 dst_sel:DWORD dst_unused:UNUSED_PAD src0_sel:DWORD src1_sel:BYTE_0
	v_lshlrev_b32_sdwa v7, v10, v67 dst_sel:DWORD dst_unused:UNUSED_PAD src0_sel:DWORD src1_sel:BYTE_0
	s_clause 0x3
	global_load_dwordx4 v[16:19], v6, s[8:9]
	global_load_dwordx4 v[28:31], v6, s[8:9] offset:16
	global_load_dwordx4 v[34:37], v7, s[8:9]
	global_load_dwordx4 v[39:42], v7, s[8:9] offset:16
	ds_read2_b64 v[12:15], v73 offset0:120 offset1:240
	ds_read2_b64 v[61:64], v74 offset0:104 offset1:224
	ds_read_b64 v[6:7], v73 offset:4800
	s_waitcnt vmcnt(3) lgkmcnt(2)
	v_mul_f64 v[10:11], v[14:15], v[18:19]
	s_waitcnt vmcnt(2) lgkmcnt(1)
	v_mul_f64 v[20:21], v[63:64], v[30:31]
	s_waitcnt vmcnt(1)
	v_mul_f64 v[22:23], v[61:62], v[36:37]
	s_waitcnt vmcnt(0) lgkmcnt(0)
	v_mul_f64 v[32:33], v[6:7], v[41:42]
	v_mul_f64 v[18:19], v[50:51], v[18:19]
	;; [unrolled: 1-line block ×5, first 2 shown]
	v_fma_f64 v[24:25], v[50:51], v[16:17], v[10:11]
	v_fma_f64 v[26:27], v[54:55], v[28:29], v[20:21]
	;; [unrolled: 1-line block ×4, first 2 shown]
	v_fma_f64 v[32:33], v[14:15], v[16:17], -v[18:19]
	v_fma_f64 v[14:15], v[63:64], v[28:29], -v[30:31]
	;; [unrolled: 1-line block ×4, first 2 shown]
	v_add_f64 v[10:11], v[4:5], v[24:25]
	v_add_f64 v[8:9], v[24:25], v[26:27]
	;; [unrolled: 1-line block ×4, first 2 shown]
	v_add_f64 v[16:17], v[32:33], -v[14:15]
	v_add_f64 v[39:40], v[34:35], -v[28:29]
	v_add_f64 v[30:31], v[10:11], v[26:27]
	v_fma_f64 v[36:37], v[8:9], -0.5, v[4:5]
	v_add_f64 v[4:5], v[18:19], v[22:23]
	v_fma_f64 v[41:42], v[6:7], -0.5, v[48:49]
	v_and_b32_e32 v18, 0xffff, v43
	v_mov_b32_e32 v19, 3
	v_mad_u32_u24 v18, 0xf0, v18, 0
	v_fma_f64 v[8:9], v[16:17], s[4:5], v[36:37]
	v_fma_f64 v[10:11], v[16:17], s[6:7], v[36:37]
	;; [unrolled: 1-line block ×4, first 2 shown]
	ds_read_b64 v[36:37], v72
	v_and_b32_e32 v39, 0xffff, v65
	v_lshlrev_b32_sdwa v40, v19, v66 dst_sel:DWORD dst_unused:UNUSED_PAD src0_sel:DWORD src1_sel:BYTE_0
	v_lshlrev_b32_sdwa v19, v19, v67 dst_sel:DWORD dst_unused:UNUSED_PAD src0_sel:DWORD src1_sel:BYTE_0
	s_waitcnt lgkmcnt(0)
	s_barrier
	v_mad_u32_u24 v41, 0xf0, v39, 0
	v_add3_u32 v39, v18, v40, v57
	buffer_gl0_inv
	v_add3_u32 v40, v41, v19, v57
	ds_write2_b64 v39, v[30:31], v[8:9] offset1:10
	ds_write_b64 v39, v[10:11] offset:160
	ds_write2_b64 v40, v[4:5], v[6:7] offset1:10
	ds_write_b64 v40, v[16:17] offset:160
	s_waitcnt lgkmcnt(0)
	s_barrier
	buffer_gl0_inv
	s_and_saveexec_b32 s1, s0
	s_cbranch_execz .LBB0_17
; %bb.16:
	v_add_nc_u32_e32 v0, 0xc00, v73
	v_add_nc_u32_e32 v1, 0x800, v73
	ds_read2_b64 v[16:19], v0 offset0:66 offset1:156
	ds_read2_b64 v[8:11], v73 offset0:90 offset1:180
	;; [unrolled: 1-line block ×3, first 2 shown]
	ds_read_b64 v[30:31], v72
	ds_read_b64 v[2:3], v73 offset:5040
	s_waitcnt lgkmcnt(4)
	v_mov_b32_e32 v0, v18
	v_mov_b32_e32 v1, v19
.LBB0_17:
	s_or_b32 exec_lo, exec_lo, s1
	v_add_f64 v[18:19], v[32:33], v[14:15]
	v_add_f64 v[41:42], v[34:35], v[28:29]
	;; [unrolled: 1-line block ×3, first 2 shown]
	v_add_f64 v[24:25], v[24:25], -v[26:27]
	v_add_f64 v[26:27], v[12:13], v[34:35]
	v_add_f64 v[22:23], v[20:21], -v[22:23]
	s_waitcnt lgkmcnt(0)
	s_barrier
	buffer_gl0_inv
	v_fma_f64 v[34:35], v[18:19], -0.5, v[36:37]
	v_fma_f64 v[36:37], v[41:42], -0.5, v[12:13]
	v_add_f64 v[32:33], v[32:33], v[14:15]
	v_add_f64 v[12:13], v[26:27], v[28:29]
	v_fma_f64 v[18:19], v[24:25], s[6:7], v[34:35]
	v_fma_f64 v[20:21], v[24:25], s[4:5], v[34:35]
	v_fma_f64 v[14:15], v[22:23], s[6:7], v[36:37]
	v_fma_f64 v[26:27], v[22:23], s[4:5], v[36:37]
	ds_write2_b64 v39, v[32:33], v[18:19] offset1:10
	ds_write_b64 v39, v[20:21] offset:160
	ds_write2_b64 v40, v[12:13], v[14:15] offset1:10
	ds_write_b64 v40, v[26:27] offset:160
	s_waitcnt lgkmcnt(0)
	s_barrier
	buffer_gl0_inv
	s_and_saveexec_b32 s1, s0
	s_cbranch_execz .LBB0_19
; %bb.18:
	v_add_nc_u32_e32 v12, 0xc00, v73
	v_add_nc_u32_e32 v13, 0x800, v73
	ds_read2_b64 v[26:29], v12 offset0:66 offset1:156
	ds_read2_b64 v[18:21], v73 offset0:90 offset1:180
	;; [unrolled: 1-line block ×3, first 2 shown]
	ds_read_b64 v[32:33], v72
	ds_read_b64 v[46:47], v73 offset:5040
	s_waitcnt lgkmcnt(4)
	v_mov_b32_e32 v45, v29
	v_mov_b32_e32 v44, v28
.LBB0_19:
	s_or_b32 exec_lo, exec_lo, s1
	v_mul_lo_u16 v22, 0x89, v38
	v_mov_b32_e32 v23, 7
	s_mov_b32 s4, 0x667f3bcd
	s_mov_b32 s5, 0x3fe6a09e
	v_lshrrev_b16 v55, 12, v22
	v_mul_lo_u16 v22, v55, 30
	v_sub_nc_u16 v48, v56, v22
	v_mul_u32_u24_sdwa v22, v48, v23 dst_sel:DWORD dst_unused:UNUSED_PAD src0_sel:BYTE_0 src1_sel:DWORD
	v_lshlrev_b32_e32 v22, 4, v22
	s_clause 0x6
	global_load_dwordx4 v[34:37], v22, s[8:9] offset:320
	global_load_dwordx4 v[38:41], v22, s[8:9] offset:352
	;; [unrolled: 1-line block ×7, first 2 shown]
	s_waitcnt vmcnt(0) lgkmcnt(0)
	s_barrier
	buffer_gl0_inv
	v_mul_f64 v[28:29], v[18:19], v[36:37]
	v_mul_f64 v[36:37], v[8:9], v[36:37]
	;; [unrolled: 1-line block ×8, first 2 shown]
	v_fma_f64 v[8:9], v[8:9], v[34:35], v[28:29]
	v_fma_f64 v[18:19], v[18:19], v[34:35], -v[36:37]
	v_fma_f64 v[4:5], v[4:5], v[38:39], v[42:43]
	v_fma_f64 v[12:13], v[12:13], v[38:39], -v[40:41]
	v_fma_f64 v[16:17], v[16:17], v[49:50], v[53:54]
	v_fma_f64 v[26:27], v[26:27], v[49:50], -v[51:52]
	v_fma_f64 v[28:29], v[46:47], v[61:62], -v[69:70]
	v_fma_f64 v[2:3], v[2:3], v[61:62], v[63:64]
	v_mul_f64 v[36:37], v[10:11], v[67:68]
	v_mul_f64 v[38:39], v[44:45], v[76:77]
	;; [unrolled: 1-line block ×3, first 2 shown]
	v_add_f64 v[16:17], v[8:9], -v[16:17]
	v_add_f64 v[26:27], v[18:19], -v[26:27]
	;; [unrolled: 1-line block ×4, first 2 shown]
	v_mul_f64 v[2:3], v[20:21], v[67:68]
	v_fma_f64 v[20:21], v[20:21], v[65:66], -v[36:37]
	v_fma_f64 v[18:19], v[18:19], 2.0, -v[26:27]
	v_add_f64 v[46:47], v[16:17], v[28:29]
	v_add_f64 v[49:50], v[26:27], -v[34:35]
	v_fma_f64 v[2:3], v[10:11], v[65:66], v[2:3]
	v_fma_f64 v[10:11], v[0:1], v[74:75], v[38:39]
	v_fma_f64 v[38:39], v[44:45], v[74:75], -v[40:41]
	v_fma_f64 v[0:1], v[8:9], 2.0, -v[16:17]
	v_fma_f64 v[4:5], v[4:5], 2.0, -v[34:35]
	;; [unrolled: 1-line block ×3, first 2 shown]
	v_and_b32_e32 v44, 0xffff, v55
	v_fma_f64 v[12:13], v[16:17], 2.0, -v[46:47]
	v_fma_f64 v[34:35], v[26:27], 2.0, -v[49:50]
	v_mul_f64 v[28:29], v[46:47], s[4:5]
	v_add_f64 v[36:37], v[2:3], -v[10:11]
	v_add_f64 v[42:43], v[20:21], -v[38:39]
	v_mul_f64 v[40:41], v[49:50], s[4:5]
	v_add_f64 v[16:17], v[0:1], -v[4:5]
	v_add_f64 v[38:39], v[18:19], -v[8:9]
	v_mul_f64 v[26:27], v[12:13], s[4:5]
	v_mul_f64 v[34:35], v[34:35], s[4:5]
	s_and_saveexec_b32 s1, s0
	s_cbranch_execz .LBB0_21
; %bb.20:
	v_mul_f64 v[4:5], v[14:15], v[24:25]
	v_fma_f64 v[2:3], v[2:3], 2.0, -v[36:37]
	v_fma_f64 v[0:1], v[0:1], 2.0, -v[16:17]
	v_mov_b32_e32 v47, 3
	v_mad_u32_u24 v49, 0x780, v44, 0
	v_lshlrev_b32_sdwa v47, v47, v48 dst_sel:DWORD dst_unused:UNUSED_PAD src0_sel:DWORD src1_sel:BYTE_0
	v_add3_u32 v47, v49, v47, v57
	v_fma_f64 v[4:5], v[6:7], v[22:23], v[4:5]
	v_add_f64 v[4:5], v[30:31], -v[4:5]
	v_add_f64 v[8:9], v[4:5], v[42:43]
	v_fma_f64 v[10:11], v[30:31], 2.0, -v[4:5]
	v_fma_f64 v[4:5], v[4:5], 2.0, -v[8:9]
	v_add_f64 v[2:3], v[10:11], -v[2:3]
	v_add_f64 v[12:13], v[8:9], v[28:29]
	v_add_f64 v[30:31], v[4:5], -v[26:27]
	v_fma_f64 v[10:11], v[10:11], 2.0, -v[2:3]
	v_add_f64 v[12:13], v[40:41], v[12:13]
	v_add_f64 v[45:46], v[2:3], v[38:39]
	;; [unrolled: 1-line block ×3, first 2 shown]
	v_add_f64 v[0:1], v[10:11], -v[0:1]
	v_fma_f64 v[8:9], v[8:9], 2.0, -v[12:13]
	v_fma_f64 v[2:3], v[2:3], 2.0, -v[45:46]
	;; [unrolled: 1-line block ×4, first 2 shown]
	ds_write2_b64 v47, v[2:3], v[8:9] offset0:60 offset1:90
	ds_write2_b64 v47, v[0:1], v[30:31] offset0:120 offset1:150
	ds_write2_b64 v47, v[10:11], v[4:5] offset1:30
	ds_write2_b64 v47, v[45:46], v[12:13] offset0:180 offset1:210
.LBB0_21:
	s_or_b32 exec_lo, exec_lo, s1
	v_add_nc_u32_e32 v4, 0x800, v73
	s_waitcnt lgkmcnt(0)
	s_barrier
	buffer_gl0_inv
	ds_read2_b64 v[0:3], v73 offset0:120 offset1:240
	ds_read2_b64 v[8:11], v4 offset0:104 offset1:224
	ds_read_b64 v[4:5], v72
	ds_read_b64 v[12:13], v73 offset:4800
	s_waitcnt lgkmcnt(0)
	s_barrier
	buffer_gl0_inv
	s_and_saveexec_b32 s1, s0
	s_cbranch_execz .LBB0_23
; %bb.22:
	v_mul_f64 v[6:7], v[6:7], v[24:25]
	v_fma_f64 v[18:19], v[18:19], 2.0, -v[38:39]
	v_fma_f64 v[6:7], v[14:15], v[22:23], -v[6:7]
	v_fma_f64 v[14:15], v[20:21], 2.0, -v[42:43]
	v_add_f64 v[6:7], v[32:33], -v[6:7]
	v_fma_f64 v[20:21], v[32:33], 2.0, -v[6:7]
	v_add_f64 v[22:23], v[6:7], -v[36:37]
	v_add_f64 v[14:15], v[20:21], -v[14:15]
	v_fma_f64 v[6:7], v[6:7], 2.0, -v[22:23]
	v_add_f64 v[24:25], v[22:23], v[40:41]
	v_fma_f64 v[20:21], v[20:21], 2.0, -v[14:15]
	v_add_f64 v[30:31], v[6:7], -v[34:35]
	v_add_f64 v[16:17], v[14:15], -v[16:17]
	;; [unrolled: 1-line block ×3, first 2 shown]
	v_mov_b32_e32 v28, 3
	v_mad_u32_u24 v29, 0x780, v44, 0
	v_lshlrev_b32_sdwa v28, v28, v48 dst_sel:DWORD dst_unused:UNUSED_PAD src0_sel:DWORD src1_sel:BYTE_0
	v_add3_u32 v28, v29, v28, v57
	v_add_f64 v[18:19], v[20:21], -v[18:19]
	v_add_f64 v[26:27], v[30:31], -v[26:27]
	v_fma_f64 v[14:15], v[14:15], 2.0, -v[16:17]
	v_fma_f64 v[22:23], v[22:23], 2.0, -v[24:25]
	;; [unrolled: 1-line block ×4, first 2 shown]
	ds_write2_b64 v28, v[14:15], v[22:23] offset0:60 offset1:90
	ds_write2_b64 v28, v[18:19], v[26:27] offset0:120 offset1:150
	ds_write2_b64 v28, v[20:21], v[6:7] offset1:30
	ds_write2_b64 v28, v[16:17], v[24:25] offset0:180 offset1:210
.LBB0_23:
	s_or_b32 exec_lo, exec_lo, s1
	s_waitcnt lgkmcnt(0)
	s_barrier
	buffer_gl0_inv
	s_and_saveexec_b32 s0, vcc_lo
	s_cbranch_execz .LBB0_25
; %bb.24:
	v_lshlrev_b32_e32 v6, 1, v60
	v_mov_b32_e32 v7, 0
	s_mov_b32 s0, 0xe8584caa
	s_mov_b32 s1, 0xbfebb67a
	s_mov_b32 s5, 0x3febb67a
	s_mov_b32 s4, s0
	v_lshlrev_b64 v[14:15], 4, v[6:7]
	v_lshlrev_b32_e32 v6, 1, v56
	v_mov_b32_e32 v57, v7
	v_add_co_u32 v16, vcc_lo, s8, v14
	v_add_co_ci_u32_e32 v17, vcc_lo, s9, v15, vcc_lo
	v_lshlrev_b64 v[14:15], 4, v[6:7]
	v_add_co_u32 v18, vcc_lo, 0xe60, v16
	v_add_co_ci_u32_e32 v19, vcc_lo, 0, v17, vcc_lo
	v_add_co_u32 v6, vcc_lo, s8, v14
	v_add_co_ci_u32_e32 v20, vcc_lo, s9, v15, vcc_lo
	;; [unrolled: 2-line block ×5, first 2 shown]
	s_clause 0x3
	global_load_dwordx4 v[14:17], v[14:15], off offset:1632
	global_load_dwordx4 v[18:21], v[18:19], off offset:16
	;; [unrolled: 1-line block ×4, first 2 shown]
	v_add_nc_u32_e32 v6, 0x800, v73
	ds_read2_b64 v[30:33], v73 offset0:120 offset1:240
	ds_read2_b64 v[34:37], v6 offset0:104 offset1:224
	ds_read_b64 v[38:39], v73 offset:4800
	ds_read_b64 v[48:49], v72
	v_mul_hi_u32 v6, 0x88888889, v60
	v_lshrrev_b32_e32 v6, 7, v6
	v_mul_u32_u24_e32 v6, 0x1e0, v6
	s_waitcnt vmcnt(3)
	v_mul_f64 v[40:41], v[8:9], v[16:17]
	s_waitcnt vmcnt(2)
	v_mul_f64 v[42:43], v[12:13], v[20:21]
	;; [unrolled: 2-line block ×4, first 2 shown]
	s_waitcnt lgkmcnt(3)
	v_mul_f64 v[24:25], v[32:33], v[24:25]
	s_waitcnt lgkmcnt(2)
	v_mul_f64 v[28:29], v[36:37], v[28:29]
	v_mul_f64 v[16:17], v[34:35], v[16:17]
	s_waitcnt lgkmcnt(1)
	v_mul_f64 v[20:21], v[38:39], v[20:21]
	v_fma_f64 v[34:35], v[34:35], v[14:15], -v[40:41]
	v_fma_f64 v[38:39], v[38:39], v[18:19], -v[42:43]
	v_fma_f64 v[32:33], v[32:33], v[22:23], -v[44:45]
	v_fma_f64 v[36:37], v[36:37], v[26:27], -v[46:47]
	v_fma_f64 v[2:3], v[2:3], v[22:23], v[24:25]
	v_fma_f64 v[10:11], v[10:11], v[26:27], v[28:29]
	;; [unrolled: 1-line block ×4, first 2 shown]
	v_add_co_u32 v46, vcc_lo, s2, v58
	v_add_co_ci_u32_e32 v47, vcc_lo, s3, v59, vcc_lo
	v_add_f64 v[24:25], v[30:31], v[34:35]
	v_add_f64 v[14:15], v[34:35], v[38:39]
	s_waitcnt lgkmcnt(0)
	v_add_f64 v[28:29], v[48:49], v[32:33]
	v_add_f64 v[16:17], v[32:33], v[36:37]
	;; [unrolled: 1-line block ×4, first 2 shown]
	v_add_f64 v[26:27], v[2:3], -v[10:11]
	v_add_f64 v[20:21], v[8:9], v[12:13]
	v_add_f64 v[32:33], v[32:33], -v[36:37]
	v_add_f64 v[22:23], v[8:9], -v[12:13]
	v_add_f64 v[8:9], v[0:1], v[8:9]
	v_add_f64 v[34:35], v[34:35], -v[38:39]
	v_lshlrev_b64 v[2:3], 4, v[56:57]
	v_add_co_u32 v46, vcc_lo, v46, v2
	v_add_co_ci_u32_e32 v47, vcc_lo, v47, v3, vcc_lo
	v_add_f64 v[2:3], v[24:25], v[38:39]
	v_fma_f64 v[30:31], v[14:15], -0.5, v[30:31]
	v_add_co_u32 v50, vcc_lo, 0x800, v46
	v_fma_f64 v[16:17], v[16:17], -0.5, v[48:49]
	v_fma_f64 v[42:43], v[18:19], -0.5, v[4:5]
	v_lshlrev_b64 v[48:49], 4, v[6:7]
	v_fma_f64 v[44:45], v[20:21], -0.5, v[0:1]
	v_add_f64 v[6:7], v[28:29], v[36:37]
	v_add_f64 v[4:5], v[40:41], v[10:11]
	;; [unrolled: 1-line block ×3, first 2 shown]
	v_add_co_ci_u32_e32 v51, vcc_lo, 0, v47, vcc_lo
	v_add_co_u32 v24, vcc_lo, v46, v48
	v_add_co_ci_u32_e32 v25, vcc_lo, v47, v49, vcc_lo
	v_fma_f64 v[10:11], v[22:23], s[0:1], v[30:31]
	v_fma_f64 v[22:23], v[22:23], s[4:5], v[30:31]
	;; [unrolled: 1-line block ×8, first 2 shown]
	v_add_co_u32 v26, vcc_lo, 0x1800, v46
	v_add_co_ci_u32_e32 v27, vcc_lo, 0, v47, vcc_lo
	v_add_co_u32 v28, vcc_lo, 0x1000, v24
	v_add_co_ci_u32_e32 v29, vcc_lo, 0, v25, vcc_lo
	;; [unrolled: 2-line block ×3, first 2 shown]
	global_store_dwordx4 v[46:47], v[4:7], off
	global_store_dwordx4 v[50:51], v[16:19], off offset:1792
	global_store_dwordx4 v[26:27], v[12:15], off offset:1536
	;; [unrolled: 1-line block ×5, first 2 shown]
.LBB0_25:
	s_endpgm
	.section	.rodata,"a",@progbits
	.p2align	6, 0x0
	.amdhsa_kernel fft_rtc_back_len720_factors_10_3_8_3_wgs_240_tpt_120_halfLds_dp_ip_CI_unitstride_sbrr_dirReg
		.amdhsa_group_segment_fixed_size 0
		.amdhsa_private_segment_fixed_size 0
		.amdhsa_kernarg_size 88
		.amdhsa_user_sgpr_count 6
		.amdhsa_user_sgpr_private_segment_buffer 1
		.amdhsa_user_sgpr_dispatch_ptr 0
		.amdhsa_user_sgpr_queue_ptr 0
		.amdhsa_user_sgpr_kernarg_segment_ptr 1
		.amdhsa_user_sgpr_dispatch_id 0
		.amdhsa_user_sgpr_flat_scratch_init 0
		.amdhsa_user_sgpr_private_segment_size 0
		.amdhsa_wavefront_size32 1
		.amdhsa_uses_dynamic_stack 0
		.amdhsa_system_sgpr_private_segment_wavefront_offset 0
		.amdhsa_system_sgpr_workgroup_id_x 1
		.amdhsa_system_sgpr_workgroup_id_y 0
		.amdhsa_system_sgpr_workgroup_id_z 0
		.amdhsa_system_sgpr_workgroup_info 0
		.amdhsa_system_vgpr_workitem_id 0
		.amdhsa_next_free_vgpr 99
		.amdhsa_next_free_sgpr 21
		.amdhsa_reserve_vcc 1
		.amdhsa_reserve_flat_scratch 0
		.amdhsa_float_round_mode_32 0
		.amdhsa_float_round_mode_16_64 0
		.amdhsa_float_denorm_mode_32 3
		.amdhsa_float_denorm_mode_16_64 3
		.amdhsa_dx10_clamp 1
		.amdhsa_ieee_mode 1
		.amdhsa_fp16_overflow 0
		.amdhsa_workgroup_processor_mode 1
		.amdhsa_memory_ordered 1
		.amdhsa_forward_progress 0
		.amdhsa_shared_vgpr_count 0
		.amdhsa_exception_fp_ieee_invalid_op 0
		.amdhsa_exception_fp_denorm_src 0
		.amdhsa_exception_fp_ieee_div_zero 0
		.amdhsa_exception_fp_ieee_overflow 0
		.amdhsa_exception_fp_ieee_underflow 0
		.amdhsa_exception_fp_ieee_inexact 0
		.amdhsa_exception_int_div_zero 0
	.end_amdhsa_kernel
	.text
.Lfunc_end0:
	.size	fft_rtc_back_len720_factors_10_3_8_3_wgs_240_tpt_120_halfLds_dp_ip_CI_unitstride_sbrr_dirReg, .Lfunc_end0-fft_rtc_back_len720_factors_10_3_8_3_wgs_240_tpt_120_halfLds_dp_ip_CI_unitstride_sbrr_dirReg
                                        ; -- End function
	.section	.AMDGPU.csdata,"",@progbits
; Kernel info:
; codeLenInByte = 5972
; NumSgprs: 23
; NumVgprs: 99
; ScratchSize: 0
; MemoryBound: 1
; FloatMode: 240
; IeeeMode: 1
; LDSByteSize: 0 bytes/workgroup (compile time only)
; SGPRBlocks: 2
; VGPRBlocks: 12
; NumSGPRsForWavesPerEU: 23
; NumVGPRsForWavesPerEU: 99
; Occupancy: 9
; WaveLimiterHint : 1
; COMPUTE_PGM_RSRC2:SCRATCH_EN: 0
; COMPUTE_PGM_RSRC2:USER_SGPR: 6
; COMPUTE_PGM_RSRC2:TRAP_HANDLER: 0
; COMPUTE_PGM_RSRC2:TGID_X_EN: 1
; COMPUTE_PGM_RSRC2:TGID_Y_EN: 0
; COMPUTE_PGM_RSRC2:TGID_Z_EN: 0
; COMPUTE_PGM_RSRC2:TIDIG_COMP_CNT: 0
	.text
	.p2alignl 6, 3214868480
	.fill 48, 4, 3214868480
	.type	__hip_cuid_cd7ff662ca15b6fd,@object ; @__hip_cuid_cd7ff662ca15b6fd
	.section	.bss,"aw",@nobits
	.globl	__hip_cuid_cd7ff662ca15b6fd
__hip_cuid_cd7ff662ca15b6fd:
	.byte	0                               ; 0x0
	.size	__hip_cuid_cd7ff662ca15b6fd, 1

	.ident	"AMD clang version 19.0.0git (https://github.com/RadeonOpenCompute/llvm-project roc-6.4.0 25133 c7fe45cf4b819c5991fe208aaa96edf142730f1d)"
	.section	".note.GNU-stack","",@progbits
	.addrsig
	.addrsig_sym __hip_cuid_cd7ff662ca15b6fd
	.amdgpu_metadata
---
amdhsa.kernels:
  - .args:
      - .actual_access:  read_only
        .address_space:  global
        .offset:         0
        .size:           8
        .value_kind:     global_buffer
      - .offset:         8
        .size:           8
        .value_kind:     by_value
      - .actual_access:  read_only
        .address_space:  global
        .offset:         16
        .size:           8
        .value_kind:     global_buffer
      - .actual_access:  read_only
        .address_space:  global
        .offset:         24
        .size:           8
        .value_kind:     global_buffer
      - .offset:         32
        .size:           8
        .value_kind:     by_value
      - .actual_access:  read_only
        .address_space:  global
        .offset:         40
        .size:           8
        .value_kind:     global_buffer
      - .actual_access:  read_only
        .address_space:  global
        .offset:         48
        .size:           8
        .value_kind:     global_buffer
      - .offset:         56
        .size:           4
        .value_kind:     by_value
      - .actual_access:  read_only
        .address_space:  global
        .offset:         64
        .size:           8
        .value_kind:     global_buffer
      - .actual_access:  read_only
        .address_space:  global
        .offset:         72
        .size:           8
        .value_kind:     global_buffer
      - .address_space:  global
        .offset:         80
        .size:           8
        .value_kind:     global_buffer
    .group_segment_fixed_size: 0
    .kernarg_segment_align: 8
    .kernarg_segment_size: 88
    .language:       OpenCL C
    .language_version:
      - 2
      - 0
    .max_flat_workgroup_size: 240
    .name:           fft_rtc_back_len720_factors_10_3_8_3_wgs_240_tpt_120_halfLds_dp_ip_CI_unitstride_sbrr_dirReg
    .private_segment_fixed_size: 0
    .sgpr_count:     23
    .sgpr_spill_count: 0
    .symbol:         fft_rtc_back_len720_factors_10_3_8_3_wgs_240_tpt_120_halfLds_dp_ip_CI_unitstride_sbrr_dirReg.kd
    .uniform_work_group_size: 1
    .uses_dynamic_stack: false
    .vgpr_count:     99
    .vgpr_spill_count: 0
    .wavefront_size: 32
    .workgroup_processor_mode: 1
amdhsa.target:   amdgcn-amd-amdhsa--gfx1030
amdhsa.version:
  - 1
  - 2
...

	.end_amdgpu_metadata
